;; amdgpu-corpus repo=ROCm/rocFFT kind=compiled arch=gfx906 opt=O3
	.text
	.amdgcn_target "amdgcn-amd-amdhsa--gfx906"
	.amdhsa_code_object_version 6
	.protected	fft_rtc_back_len192_factors_6_4_4_2_wgs_256_tpt_32_sp_op_CI_CI_sbrc_z_xy_unaligned ; -- Begin function fft_rtc_back_len192_factors_6_4_4_2_wgs_256_tpt_32_sp_op_CI_CI_sbrc_z_xy_unaligned
	.globl	fft_rtc_back_len192_factors_6_4_4_2_wgs_256_tpt_32_sp_op_CI_CI_sbrc_z_xy_unaligned
	.p2align	8
	.type	fft_rtc_back_len192_factors_6_4_4_2_wgs_256_tpt_32_sp_op_CI_CI_sbrc_z_xy_unaligned,@function
fft_rtc_back_len192_factors_6_4_4_2_wgs_256_tpt_32_sp_op_CI_CI_sbrc_z_xy_unaligned: ; @fft_rtc_back_len192_factors_6_4_4_2_wgs_256_tpt_32_sp_op_CI_CI_sbrc_z_xy_unaligned
; %bb.0:
	s_load_dwordx8 s[8:15], s[4:5], 0x8
	s_mov_b64 s[24:25], -1
	v_lshl_add_u32 v3, v0, 3, 0
	s_waitcnt lgkmcnt(0)
	s_load_dwordx4 s[16:19], s[10:11], 0x8
	s_waitcnt lgkmcnt(0)
	s_load_dword s17, s[12:13], 0x10
	s_add_i32 s0, s16, -1
	s_lshr_b32 s7, s0, 3
	s_add_i32 s10, s7, 1
	s_mul_i32 s11, s10, s18
	v_cvt_f32_u32_e32 v2, s11
	v_cvt_f32_u32_e32 v1, s10
	s_load_dwordx4 s[0:3], s[12:13], 0x0
	s_waitcnt lgkmcnt(0)
	s_sub_i32 s3, 0, s11
	v_rcp_iflag_f32_e32 v2, v2
	v_rcp_iflag_f32_e32 v1, v1
	v_mul_f32_e32 v2, 0x4f7ffffe, v2
	v_cvt_u32_f32_e32 v2, v2
	v_mul_f32_e32 v1, 0x4f7ffffe, v1
	v_cvt_u32_f32_e32 v1, v1
	v_readfirstlane_b32 s19, v2
	s_mul_i32 s3, s3, s19
	s_mul_hi_u32 s3, s19, s3
	s_add_i32 s19, s19, s3
	s_mul_hi_u32 s3, s6, s19
	s_mul_i32 s19, s3, s11
	s_sub_i32 s19, s6, s19
	s_add_i32 s20, s3, 1
	s_sub_i32 s21, s19, s11
	s_cmp_ge_u32 s19, s11
	s_cselect_b32 s3, s20, s3
	s_cselect_b32 s19, s21, s19
	s_add_i32 s20, s3, 1
	s_cmp_ge_u32 s19, s11
	v_readfirstlane_b32 s18, v1
	s_cselect_b32 s3, s20, s3
	s_not_b32 s7, s7
	s_mul_i32 s7, s7, s18
	s_mul_i32 s11, s3, s11
	s_mul_hi_u32 s7, s18, s7
	s_sub_i32 s11, s6, s11
	s_add_i32 s18, s18, s7
	s_mul_hi_u32 s7, s11, s18
	s_mul_i32 s19, s7, s10
	s_sub_i32 s11, s11, s19
	s_add_i32 s20, s7, 1
	s_sub_i32 s19, s11, s10
	s_cmp_ge_u32 s11, s10
	s_cselect_b32 s7, s20, s7
	s_cselect_b32 s11, s19, s11
	s_add_i32 s19, s7, 1
	s_cmp_ge_u32 s11, s10
	s_cselect_b32 s26, s19, s7
	s_mul_hi_u32 s7, s6, s18
	s_mul_i32 s7, s7, s10
	s_sub_i32 s6, s6, s7
	s_sub_i32 s7, s6, s10
	s_cmp_ge_u32 s6, s10
	s_cselect_b32 s6, s7, s6
	s_sub_i32 s7, s6, s10
	s_cmp_ge_u32 s6, s10
	s_cselect_b32 s6, s7, s6
	s_mul_i32 s7, s26, s17
	s_lshl_b32 s17, s6, 3
	s_mul_i32 s6, s17, s2
	s_add_i32 s18, s6, s7
	s_lshl_b64 s[8:9], s[8:9], 3
	s_add_u32 s10, s12, s8
	s_addc_u32 s11, s13, s9
	s_load_dwordx2 s[12:13], s[10:11], 0x0
	s_load_dwordx2 s[20:21], s[4:5], 0x58
	;; [unrolled: 1-line block ×3, first 2 shown]
	s_waitcnt lgkmcnt(0)
	s_mul_i32 s7, s13, s3
	s_mul_hi_u32 s10, s12, s3
	s_add_i32 s10, s10, s7
	s_mul_i32 s7, s12, s3
	s_add_u32 s22, s7, s18
	s_addc_u32 s23, s10, 0
	s_add_u32 s18, s14, s8
	s_addc_u32 s19, s15, s9
	s_load_dwordx4 s[8:11], s[14:15], 0x0
	s_load_dwordx2 s[12:13], s[18:19], 0x0
	s_add_i32 s7, s17, 8
	s_cmp_le_u32 s7, s16
	s_cselect_b64 s[14:15], -1, 0
	s_and_b64 vcc, exec, s[14:15]
	s_cbranch_vccnz .LBB0_4
; %bb.1:
	s_lshl_b64 s[18:19], s[22:23], 3
	s_add_u32 s7, s20, s18
	s_addc_u32 s24, s21, s19
	s_mov_b64 s[18:19], 0
	s_waitcnt lgkmcnt(0)
	s_mov_b32 s11, 0xaaab
	v_mov_b32_e32 v2, 0
	v_mov_b32_e32 v4, s24
	s_movk_i32 s24, 0x5ff
	v_mov_b32_e32 v5, v0
	v_mov_b32_e32 v6, v3
.LBB0_2:                                ; =>This Inner Loop Header: Depth=1
	v_mul_u32_u24_sdwa v1, v5, s11 dst_sel:DWORD dst_unused:UNUSED_PAD src0_sel:WORD_0 src1_sel:DWORD
	v_lshrrev_b32_e32 v1, 23, v1
	v_mul_lo_u16_e32 v7, 0xc0, v1
	v_sub_u16_e32 v11, v5, v7
	v_mul_lo_u32 v1, s2, v1
	v_mad_u64_u32 v[7:8], s[28:29], s0, v11, 0
	v_add_u32_e32 v5, 0x100, v5
	v_lshlrev_b64 v[9:10], 3, v[1:2]
	v_mov_b32_e32 v1, v8
	v_mad_u64_u32 v[11:12], s[28:29], s1, v11, v[1:2]
	v_mov_b32_e32 v8, v11
	v_lshlrev_b64 v[7:8], 3, v[7:8]
	v_add_co_u32_e32 v1, vcc, s7, v7
	v_addc_co_u32_e32 v8, vcc, v4, v8, vcc
	v_add_co_u32_e32 v7, vcc, v1, v9
	v_addc_co_u32_e32 v8, vcc, v8, v10, vcc
	global_load_dwordx2 v[7:8], v[7:8], off
	v_cmp_lt_u32_e32 vcc, s24, v5
	s_or_b64 s[18:19], vcc, s[18:19]
	s_waitcnt vmcnt(0)
	ds_write_b64 v6, v[7:8]
	v_add_u32_e32 v6, 0x800, v6
	s_andn2_b64 exec, exec, s[18:19]
	s_cbranch_execnz .LBB0_2
; %bb.3:
	s_or_b64 exec, exec, s[18:19]
	s_mov_b64 s[24:25], 0
.LBB0_4:
	s_load_dwordx2 s[18:19], s[4:5], 0x0
	s_and_b64 vcc, exec, s[24:25]
	s_cbranch_vccz .LBB0_6
; %bb.5:
	v_mul_u32_u24_e32 v1, 0x156, v0
	v_lshrrev_b32_e32 v4, 16, v1
	v_mul_lo_u16_e32 v1, 0xc0, v4
	v_sub_u16_e32 v6, v0, v1
	v_mad_u64_u32 v[1:2], s[24:25], s0, v6, 0
	s_lshl_b64 s[22:23], s[22:23], 3
	s_add_u32 s7, s20, s22
	v_mad_u64_u32 v[6:7], s[24:25], s1, v6, v[2:3]
	v_mul_lo_u32 v4, s2, v4
	s_waitcnt lgkmcnt(0)
	s_addc_u32 s11, s21, s23
	v_mov_b32_e32 v2, v6
	v_or_b32_e32 v6, 0x100, v0
	v_mul_u32_u24_e32 v7, 0x156, v6
	v_lshrrev_b32_e32 v9, 16, v7
	v_mul_lo_u16_e32 v7, 0xc0, v9
	v_sub_u16_e32 v10, v6, v7
	v_mad_u64_u32 v[6:7], s[20:21], s0, v10, 0
	v_lshlrev_b64 v[1:2], 3, v[1:2]
	v_mov_b32_e32 v5, 0
	v_mov_b32_e32 v8, s11
	v_add_co_u32_e32 v11, vcc, s7, v1
	v_addc_co_u32_e32 v12, vcc, v8, v2, vcc
	v_lshlrev_b64 v[1:2], 3, v[4:5]
	v_mov_b32_e32 v4, v7
	v_mad_u64_u32 v[7:8], s[20:21], s1, v10, v[4:5]
	v_or_b32_e32 v8, 0x200, v0
	v_mul_lo_u32 v4, s2, v9
	v_mul_u32_u24_e32 v9, 0x2ab, v8
	v_add_co_u32_e32 v1, vcc, v11, v1
	v_lshrrev_b32_e32 v11, 17, v9
	v_mul_lo_u16_e32 v9, 0xc0, v11
	v_addc_co_u32_e32 v2, vcc, v12, v2, vcc
	v_sub_u16_e32 v12, v8, v9
	v_mad_u64_u32 v[8:9], s[20:21], s0, v12, 0
	v_lshlrev_b64 v[6:7], 3, v[6:7]
	v_mov_b32_e32 v10, s11
	v_add_co_u32_e32 v13, vcc, s7, v6
	v_addc_co_u32_e32 v14, vcc, v10, v7, vcc
	v_lshlrev_b64 v[6:7], 3, v[4:5]
	v_mov_b32_e32 v4, v9
	v_mad_u64_u32 v[9:10], s[20:21], s1, v12, v[4:5]
	v_or_b32_e32 v10, 0x300, v0
	v_mul_lo_u32 v4, s2, v11
	v_mul_u32_u24_e32 v11, 0x2ab, v10
	v_add_co_u32_e32 v6, vcc, v13, v6
	v_lshrrev_b32_e32 v13, 17, v11
	v_mul_lo_u16_e32 v11, 0xc0, v13
	v_addc_co_u32_e32 v7, vcc, v14, v7, vcc
	v_sub_u16_e32 v14, v10, v11
	v_mad_u64_u32 v[10:11], s[20:21], s0, v14, 0
	v_lshlrev_b64 v[8:9], 3, v[8:9]
	;; [unrolled: 16-line block ×3, first 2 shown]
	v_mov_b32_e32 v14, s11
	v_add_co_u32_e32 v17, vcc, s7, v10
	v_addc_co_u32_e32 v18, vcc, v14, v11, vcc
	v_lshlrev_b64 v[10:11], 3, v[4:5]
	v_mov_b32_e32 v4, v13
	v_mad_u64_u32 v[13:14], s[20:21], s1, v16, v[4:5]
	v_mul_lo_u32 v4, s2, v15
	v_add_co_u32_e32 v10, vcc, v17, v10
	v_lshlrev_b64 v[12:13], 3, v[12:13]
	v_addc_co_u32_e32 v11, vcc, v18, v11, vcc
	v_mov_b32_e32 v14, s11
	v_add_co_u32_e32 v16, vcc, s7, v12
	v_addc_co_u32_e32 v17, vcc, v14, v13, vcc
	v_lshlrev_b64 v[12:13], 3, v[4:5]
	v_or_b32_e32 v4, 0x500, v0
	v_mul_u32_u24_e32 v14, 0x2ab, v4
	v_lshrrev_b32_e32 v24, 17, v14
	v_mul_lo_u16_e32 v14, 0xc0, v24
	v_sub_u16_e32 v18, v4, v14
	v_mad_u64_u32 v[14:15], s[20:21], s0, v18, 0
	v_add_co_u32_e32 v12, vcc, v16, v12
	v_mov_b32_e32 v4, v15
	v_mad_u64_u32 v[15:16], s[0:1], s1, v18, v[4:5]
	v_mul_lo_u32 v4, s2, v24
	v_addc_co_u32_e32 v13, vcc, v17, v13, vcc
	global_load_dwordx2 v[16:17], v[1:2], off
	global_load_dwordx2 v[18:19], v[6:7], off
	global_load_dwordx2 v[20:21], v[8:9], off
	global_load_dwordx2 v[22:23], v[10:11], off
	v_lshlrev_b64 v[1:2], 3, v[14:15]
	v_mov_b32_e32 v6, s11
	v_add_co_u32_e32 v7, vcc, s7, v1
	v_addc_co_u32_e32 v6, vcc, v6, v2, vcc
	v_lshlrev_b64 v[1:2], 3, v[4:5]
	v_add_co_u32_e32 v1, vcc, v7, v1
	v_addc_co_u32_e32 v2, vcc, v6, v2, vcc
	global_load_dwordx2 v[4:5], v[12:13], off
	global_load_dwordx2 v[6:7], v[1:2], off
	s_waitcnt vmcnt(4)
	ds_write2st64_b64 v3, v[16:17], v[18:19] offset1:4
	s_waitcnt vmcnt(2)
	ds_write2st64_b64 v3, v[20:21], v[22:23] offset0:8 offset1:12
	s_waitcnt vmcnt(0)
	ds_write2st64_b64 v3, v[4:5], v[6:7] offset0:16 offset1:20
.LBB0_6:
	v_lshrrev_b32_e32 v1, 5, v0
	v_and_b32_e32 v23, 31, v0
	v_mul_u32_u24_e32 v18, 0xc0, v1
	v_lshlrev_b32_e32 v20, 3, v23
	v_lshlrev_b32_e32 v22, 3, v18
	v_add_u32_e32 v19, 0, v20
	v_add_u32_e32 v17, v19, v22
	s_waitcnt lgkmcnt(0)
	s_barrier
	ds_read2_b64 v[1:4], v17 offset0:96 offset1:128
	ds_read_b64 v[9:10], v17 offset:1280
	ds_read2_b64 v[5:8], v17 offset0:32 offset1:64
	v_add3_u32 v21, 0, v22, v20
	ds_read_b64 v[11:12], v21
	v_mad_u32_u24 v28, v23, 40, v17
	s_waitcnt lgkmcnt(2)
	v_add_f32_e32 v14, v2, v10
	v_add_f32_e32 v13, v1, v9
	s_waitcnt lgkmcnt(1)
	v_fma_f32 v14, -0.5, v14, v6
	v_fma_f32 v13, -0.5, v13, v5
	v_add_f32_e32 v16, v7, v3
	v_sub_f32_e32 v24, v8, v4
	s_waitcnt lgkmcnt(0)
	v_add_f32_e32 v25, v12, v8
	v_add_f32_e32 v8, v8, v4
	;; [unrolled: 1-line block ×3, first 2 shown]
	v_sub_f32_e32 v26, v2, v10
	v_sub_f32_e32 v27, v1, v9
	v_mov_b32_e32 v2, v14
	v_add_f32_e32 v5, v5, v1
	v_add_f32_e32 v6, v6, v10
	v_fmac_f32_e32 v12, -0.5, v8
	v_mov_b32_e32 v1, v13
	v_fmac_f32_e32 v2, 0x3f5db3d7, v27
	v_fma_f32 v10, -0.5, v16, v11
	v_add_f32_e32 v15, v11, v7
	v_sub_f32_e32 v7, v7, v3
	v_add_f32_e32 v5, v5, v9
	v_fmac_f32_e32 v1, 0xbf5db3d7, v26
	v_mul_f32_e32 v8, 0xbf5db3d7, v2
	v_mul_f32_e32 v9, 0.5, v2
	v_mov_b32_e32 v11, v10
	v_mov_b32_e32 v16, v12
	v_add_f32_e32 v15, v15, v3
	v_add_f32_e32 v25, v25, v4
	v_fmac_f32_e32 v8, 0.5, v1
	v_fmac_f32_e32 v9, 0x3f5db3d7, v1
	v_fmac_f32_e32 v11, 0xbf5db3d7, v24
	;; [unrolled: 1-line block ×3, first 2 shown]
	v_add_f32_e32 v1, v15, v5
	v_add_f32_e32 v2, v25, v6
	;; [unrolled: 1-line block ×4, first 2 shown]
	v_fmac_f32_e32 v14, 0xbf5db3d7, v27
	s_barrier
	ds_write2_b64 v28, v[1:2], v[3:4] offset1:1
	v_sub_f32_e32 v2, v16, v9
	v_fmac_f32_e32 v13, 0x3f5db3d7, v26
	v_mul_f32_e32 v4, 0xbf5db3d7, v14
	v_mul_f32_e32 v9, -0.5, v14
	v_fmac_f32_e32 v10, 0x3f5db3d7, v24
	v_fmac_f32_e32 v12, 0xbf5db3d7, v7
	v_fmac_f32_e32 v4, -0.5, v13
	v_fmac_f32_e32 v9, 0x3f5db3d7, v13
	v_sub_f32_e32 v5, v15, v5
	v_sub_f32_e32 v6, v25, v6
	;; [unrolled: 1-line block ×3, first 2 shown]
	v_add_f32_e32 v7, v10, v4
	v_add_f32_e32 v8, v12, v9
	v_sub_f32_e32 v3, v10, v4
	v_sub_f32_e32 v4, v12, v9
	ds_write2_b64 v28, v[7:8], v[5:6] offset0:2 offset1:3
	ds_write2_b64 v28, v[1:2], v[3:4] offset0:4 offset1:5
	s_waitcnt lgkmcnt(0)
	s_barrier
	ds_read2_b64 v[9:12], v17 offset0:48 offset1:96
	ds_read_b64 v[13:14], v21
	ds_read_b64 v[15:16], v17 offset:1152
	v_cmp_gt_u32_e32 vcc, 16, v23
                                        ; implicit-def: $vgpr8
	s_and_saveexec_b64 s[0:1], vcc
	s_cbranch_execz .LBB0_8
; %bb.7:
	ds_read2_b64 v[1:4], v17 offset0:32 offset1:80
	ds_read2_b64 v[5:8], v17 offset0:128 offset1:176
.LBB0_8:
	s_or_b64 exec, exec, s[0:1]
	v_mul_lo_u16_e32 v33, 43, v23
	v_mov_b32_e32 v34, 6
	v_mul_lo_u16_sdwa v24, v33, v34 dst_sel:DWORD dst_unused:UNUSED_PAD src0_sel:BYTE_1 src1_sel:DWORD
	v_sub_u16_e32 v35, v23, v24
	v_mul_lo_u16_e32 v24, 3, v35
	v_mov_b32_e32 v26, 3
	v_lshlrev_b32_sdwa v24, v26, v24 dst_sel:DWORD dst_unused:UNUSED_PAD src0_sel:DWORD src1_sel:BYTE_0
	global_load_dwordx4 v[27:30], v24, s[18:19]
	global_load_dwordx2 v[31:32], v24, s[18:19] offset:16
	s_waitcnt vmcnt(1) lgkmcnt(2)
	v_mul_f32_e32 v24, v28, v9
	v_mul_f32_e32 v25, v30, v11
	v_fma_f32 v38, v27, v10, -v24
	v_or_b32_e32 v24, 32, v23
	v_mul_f32_e32 v36, v28, v10
	v_fma_f32 v39, v29, v12, -v25
	v_mul_lo_u16_e32 v25, 43, v24
	v_fmac_f32_e32 v36, v27, v9
	v_mul_lo_u16_sdwa v9, v25, v34 dst_sel:DWORD dst_unused:UNUSED_PAD src0_sel:BYTE_1 src1_sel:DWORD
	v_sub_u16_e32 v9, v24, v9
	v_mul_lo_u16_e32 v10, 3, v9
	v_mul_f32_e32 v37, v30, v12
	v_lshlrev_b32_sdwa v10, v26, v10 dst_sel:DWORD dst_unused:UNUSED_PAD src0_sel:DWORD src1_sel:BYTE_0
	v_fmac_f32_e32 v37, v29, v11
	s_waitcnt vmcnt(0) lgkmcnt(0)
	v_mul_f32_e32 v34, v32, v16
	global_load_dwordx2 v[11:12], v10, s[18:19] offset:16
	v_mul_f32_e32 v27, v32, v15
	v_fmac_f32_e32 v34, v31, v15
	v_fma_f32 v15, v31, v16, -v27
	global_load_dwordx4 v[27:30], v10, s[18:19]
	v_mov_b32_e32 v10, 24
	v_mul_lo_u16_sdwa v16, v33, v10 dst_sel:DWORD dst_unused:UNUSED_PAD src0_sel:BYTE_1 src1_sel:DWORD
	v_or_b32_e32 v16, v16, v35
	v_lshlrev_b32_sdwa v16, v26, v16 dst_sel:DWORD dst_unused:UNUSED_PAD src0_sel:DWORD src1_sel:BYTE_0
	v_add3_u32 v31, 0, v16, v22
	s_waitcnt vmcnt(0)
	s_barrier
	v_mul_f32_e32 v16, v8, v12
	v_mul_f32_e32 v12, v7, v12
	v_fmac_f32_e32 v16, v7, v11
	v_fma_f32 v7, v8, v11, -v12
	v_mul_f32_e32 v8, v6, v30
	v_mul_f32_e32 v11, v5, v30
	v_fmac_f32_e32 v8, v5, v29
	v_fma_f32 v5, v6, v29, -v11
	;; [unrolled: 4-line block ×3, first 2 shown]
	v_sub_f32_e32 v4, v13, v37
	v_sub_f32_e32 v27, v14, v39
	;; [unrolled: 1-line block ×6, first 2 shown]
	v_fma_f32 v5, v13, 2.0, -v4
	v_fma_f32 v28, v14, 2.0, -v27
	;; [unrolled: 1-line block ×4, first 2 shown]
	v_add_f32_e32 v11, v4, v11
	v_sub_f32_e32 v32, v6, v16
	v_sub_f32_e32 v7, v3, v7
	;; [unrolled: 1-line block ×3, first 2 shown]
	v_fma_f32 v1, v1, 2.0, -v29
	v_fma_f32 v2, v2, 2.0, -v30
	v_sub_f32_e32 v13, v5, v8
	v_fma_f32 v15, v4, 2.0, -v11
	v_fma_f32 v4, v6, 2.0, -v32
	;; [unrolled: 1-line block ×3, first 2 shown]
	v_sub_f32_e32 v14, v28, v14
	v_fma_f32 v16, v27, 2.0, -v12
	v_add_f32_e32 v7, v29, v7
	v_sub_f32_e32 v8, v30, v32
	v_fma_f32 v27, v5, 2.0, -v13
	v_sub_f32_e32 v5, v1, v4
	v_sub_f32_e32 v6, v2, v3
	v_fma_f32 v28, v28, 2.0, -v14
	v_fma_f32 v3, v29, 2.0, -v7
	;; [unrolled: 1-line block ×5, first 2 shown]
	ds_write2_b64 v31, v[27:28], v[15:16] offset1:6
	ds_write2_b64 v31, v[13:14], v[11:12] offset0:12 offset1:18
	s_and_saveexec_b64 s[0:1], vcc
	s_cbranch_execz .LBB0_10
; %bb.9:
	v_mul_lo_u16_sdwa v10, v25, v10 dst_sel:DWORD dst_unused:UNUSED_PAD src0_sel:BYTE_1 src1_sel:DWORD
	v_or_b32_e32 v9, v10, v9
	v_lshlrev_b32_sdwa v9, v26, v9 dst_sel:DWORD dst_unused:UNUSED_PAD src0_sel:DWORD src1_sel:BYTE_0
	v_add3_u32 v9, 0, v9, v22
	ds_write2_b64 v9, v[1:2], v[3:4] offset1:6
	ds_write2_b64 v9, v[5:6], v[7:8] offset0:12 offset1:18
.LBB0_10:
	s_or_b64 exec, exec, s[0:1]
	s_waitcnt lgkmcnt(0)
	s_barrier
	ds_read2_b64 v[9:12], v17 offset0:48 offset1:96
	ds_read_b64 v[13:14], v21
	ds_read_b64 v[15:16], v17 offset:1152
	s_and_saveexec_b64 s[0:1], vcc
	s_cbranch_execz .LBB0_12
; %bb.11:
	ds_read2_b64 v[1:4], v17 offset0:32 offset1:80
	ds_read2_b64 v[5:8], v17 offset0:128 offset1:176
.LBB0_12:
	s_or_b64 exec, exec, s[0:1]
	v_subrev_u32_e32 v26, 24, v23
	v_cmp_gt_u32_e64 s[0:1], 24, v23
	v_cndmask_b32_e64 v34, v26, v23, s[0:1]
	v_mul_i32_i24_e32 v26, 3, v34
	v_mov_b32_e32 v27, 0
	v_lshlrev_b64 v[26:27], 3, v[26:27]
	v_mov_b32_e32 v28, s19
	v_add_co_u32_e64 v30, s[0:1], s18, v26
	v_addc_co_u32_e64 v31, s[0:1], v28, v27, s[0:1]
	global_load_dwordx4 v[26:29], v[30:31], off offset:144
	global_load_dwordx2 v[32:33], v[30:31], off offset:160
	v_mov_b32_e32 v30, 0x60
	v_cmp_lt_u32_e64 s[0:1], 23, v23
	v_cndmask_b32_e64 v23, 0, v30, s[0:1]
	v_or_b32_e32 v23, v23, v34
	v_lshlrev_b32_e32 v23, 3, v23
	v_add3_u32 v23, 0, v23, v22
	s_waitcnt vmcnt(0) lgkmcnt(0)
	s_barrier
	v_mul_f32_e32 v30, v27, v10
	v_mul_f32_e32 v27, v27, v9
	v_mul_f32_e32 v31, v29, v12
	v_mul_f32_e32 v29, v29, v11
	v_mul_f32_e32 v34, v33, v16
	v_mul_f32_e32 v33, v33, v15
	v_fmac_f32_e32 v30, v26, v9
	v_fma_f32 v9, v26, v10, -v27
	v_fmac_f32_e32 v31, v28, v11
	v_fma_f32 v10, v28, v12, -v29
	;; [unrolled: 2-line block ×3, first 2 shown]
	v_sub_f32_e32 v15, v13, v31
	v_sub_f32_e32 v16, v14, v10
	;; [unrolled: 1-line block ×4, first 2 shown]
	v_fma_f32 v26, v13, 2.0, -v15
	v_fma_f32 v27, v14, 2.0, -v16
	;; [unrolled: 1-line block ×4, first 2 shown]
	v_add_f32_e32 v9, v15, v11
	v_sub_f32_e32 v10, v16, v10
	v_sub_f32_e32 v11, v26, v12
	;; [unrolled: 1-line block ×3, first 2 shown]
	v_fma_f32 v13, v15, 2.0, -v9
	v_fma_f32 v14, v16, 2.0, -v10
	v_fma_f32 v15, v26, 2.0, -v11
	v_fma_f32 v16, v27, 2.0, -v12
	ds_write2_b64 v23, v[15:16], v[13:14] offset1:24
	ds_write2_b64 v23, v[11:12], v[9:10] offset0:48 offset1:72
	s_and_saveexec_b64 s[0:1], vcc
	s_cbranch_execz .LBB0_14
; %bb.13:
	v_lshrrev_b16_e32 v9, 10, v25
	v_mul_lo_u16_e32 v9, 24, v9
	v_sub_u16_e32 v15, v24, v9
	v_mov_b32_e32 v16, 3
	v_mul_u32_u24_sdwa v9, v15, v16 dst_sel:DWORD dst_unused:UNUSED_PAD src0_sel:BYTE_0 src1_sel:DWORD
	v_lshlrev_b32_e32 v23, 3, v9
	global_load_dwordx4 v[9:12], v23, s[18:19] offset:144
	global_load_dwordx2 v[13:14], v23, s[18:19] offset:160
	v_lshlrev_b32_sdwa v15, v16, v15 dst_sel:DWORD dst_unused:UNUSED_PAD src0_sel:DWORD src1_sel:BYTE_0
	v_add3_u32 v15, 0, v15, v22
	s_waitcnt vmcnt(1)
	v_mul_f32_e32 v16, v5, v12
	v_mul_f32_e32 v22, v4, v10
	s_waitcnt vmcnt(0)
	v_mul_f32_e32 v23, v8, v14
	v_mul_f32_e32 v12, v6, v12
	;; [unrolled: 1-line block ×4, first 2 shown]
	v_fma_f32 v6, v6, v11, -v16
	v_fmac_f32_e32 v22, v3, v9
	v_fmac_f32_e32 v23, v7, v13
	v_fmac_f32_e32 v12, v5, v11
	v_fma_f32 v5, v4, v9, -v10
	v_fma_f32 v3, v8, v13, -v14
	v_sub_f32_e32 v6, v2, v6
	v_sub_f32_e32 v7, v22, v23
	;; [unrolled: 1-line block ×5, first 2 shown]
	v_add_f32_e32 v3, v8, v9
	v_fma_f32 v10, v2, 2.0, -v6
	v_fma_f32 v5, v5, 2.0, -v9
	;; [unrolled: 1-line block ×5, first 2 shown]
	v_sub_f32_e32 v6, v10, v5
	v_sub_f32_e32 v5, v9, v7
	v_fma_f32 v1, v8, 2.0, -v3
	v_fma_f32 v8, v10, 2.0, -v6
	;; [unrolled: 1-line block ×3, first 2 shown]
	ds_write2_b64 v15, v[7:8], v[1:2] offset0:96 offset1:120
	ds_write2_b64 v15, v[5:6], v[3:4] offset0:144 offset1:168
.LBB0_14:
	s_or_b64 exec, exec, s[0:1]
	s_waitcnt lgkmcnt(0)
	s_barrier
	global_load_dwordx2 v[10:11], v20, s[18:19] offset:720
	global_load_dwordx2 v[12:13], v20, s[18:19] offset:976
	;; [unrolled: 1-line block ×3, first 2 shown]
	ds_read2_b64 v[2:5], v17 offset0:96 offset1:128
	ds_read2_b64 v[6:9], v17 offset0:32 offset1:64
	v_lshl_add_u32 v16, v18, 3, v19
	ds_read_b64 v[18:19], v21
	ds_read_b64 v[20:21], v17 offset:1280
	v_and_b32_e32 v1, 7, v0
	v_or_b32_e32 v22, s17, v1
	v_cmp_gt_u32_e32 vcc, s16, v22
	s_or_b64 s[0:1], s[14:15], vcc
	s_waitcnt vmcnt(0) lgkmcnt(0)
	s_barrier
	v_mul_f32_e32 v22, v11, v3
	v_mul_f32_e32 v11, v11, v2
	;; [unrolled: 1-line block ×6, first 2 shown]
	v_fmac_f32_e32 v22, v10, v2
	v_fma_f32 v3, v10, v3, -v11
	v_fmac_f32_e32 v23, v12, v4
	v_fma_f32 v5, v12, v5, -v13
	;; [unrolled: 2-line block ×3, first 2 shown]
	v_sub_f32_e32 v2, v18, v22
	v_sub_f32_e32 v3, v19, v3
	;; [unrolled: 1-line block ×6, first 2 shown]
	v_fma_f32 v12, v18, 2.0, -v2
	v_fma_f32 v13, v19, 2.0, -v3
	;; [unrolled: 1-line block ×6, first 2 shown]
	ds_write2_b64 v16, v[4:5], v[10:11] offset0:128 offset1:160
	ds_write2_b64 v17, v[12:13], v[6:7] offset1:32
	ds_write2_b64 v17, v[8:9], v[2:3] offset0:64 offset1:96
	s_waitcnt lgkmcnt(0)
	s_barrier
	s_and_saveexec_b64 s[14:15], s[0:1]
	s_cbranch_execz .LBB0_16
; %bb.15:
	v_mad_u64_u32 v[4:5], s[14:15], s8, v1, 0
	s_load_dwordx2 s[0:1], s[4:5], 0x60
	s_mul_i32 s2, s9, s17
	s_mul_hi_u32 s7, s8, s17
	v_mov_b32_e32 v2, v5
	s_mul_i32 s4, s26, s10
	s_add_i32 s11, s7, s2
	s_mul_i32 s10, s8, s17
	s_mul_i32 s2, s13, s3
	s_mul_hi_u32 s7, s12, s3
	v_mad_u64_u32 v[2:3], s[8:9], s9, v1, v[2:3]
	s_add_i32 s9, s7, s2
	s_mul_i32 s8, s12, s3
	s_lshl_b64 s[2:3], s[10:11], 3
	s_mov_b32 s5, 0
	s_waitcnt lgkmcnt(0)
	s_add_u32 s2, s0, s2
	s_addc_u32 s3, s1, s3
	s_lshl_b64 s[0:1], s[4:5], 3
	v_lshrrev_b32_e32 v3, 3, v0
	s_add_u32 s2, s2, s0
	v_mov_b32_e32 v5, v2
	v_mul_lo_u32 v6, v3, s6
	s_addc_u32 s3, s3, s1
	s_lshl_b64 s[0:1], s[8:9], 3
	v_mul_u32_u24_e32 v1, 0x600, v1
	v_and_b32_e32 v0, 0xf8, v0
	s_add_u32 s0, s2, s0
	v_lshlrev_b64 v[4:5], 3, v[4:5]
	v_add3_u32 v8, 0, v1, v0
	s_addc_u32 s1, s3, s1
	v_mov_b32_e32 v7, 0
	ds_read2_b64 v[0:3], v8 offset1:32
	v_mov_b32_e32 v9, s1
	v_add_co_u32_e32 v10, vcc, s0, v4
	v_addc_co_u32_e32 v9, vcc, v9, v5, vcc
	v_lshlrev_b64 v[4:5], 3, v[6:7]
	s_lshl_b32 s0, s6, 5
	v_add_co_u32_e32 v4, vcc, v10, v4
	v_addc_co_u32_e32 v5, vcc, v9, v5, vcc
	v_add_u32_e32 v6, s0, v6
	s_waitcnt lgkmcnt(0)
	global_store_dwordx2 v[4:5], v[0:1], off
	v_lshlrev_b64 v[0:1], 3, v[6:7]
	v_add_u32_e32 v6, s0, v6
	v_add_co_u32_e32 v0, vcc, v10, v0
	v_addc_co_u32_e32 v1, vcc, v9, v1, vcc
	global_store_dwordx2 v[0:1], v[2:3], off
	ds_read2_b64 v[0:3], v8 offset0:64 offset1:96
	v_lshlrev_b64 v[4:5], 3, v[6:7]
	v_add_u32_e32 v6, s0, v6
	v_add_co_u32_e32 v4, vcc, v10, v4
	v_addc_co_u32_e32 v5, vcc, v9, v5, vcc
	s_waitcnt lgkmcnt(0)
	global_store_dwordx2 v[4:5], v[0:1], off
	v_lshlrev_b64 v[0:1], 3, v[6:7]
	v_add_u32_e32 v6, s0, v6
	v_add_co_u32_e32 v0, vcc, v10, v0
	v_addc_co_u32_e32 v1, vcc, v9, v1, vcc
	global_store_dwordx2 v[0:1], v[2:3], off
	ds_read2_b64 v[0:3], v8 offset0:128 offset1:160
	v_lshlrev_b64 v[4:5], 3, v[6:7]
	v_add_u32_e32 v6, s0, v6
	v_add_co_u32_e32 v4, vcc, v10, v4
	v_addc_co_u32_e32 v5, vcc, v9, v5, vcc
	s_waitcnt lgkmcnt(0)
	global_store_dwordx2 v[4:5], v[0:1], off
	v_lshlrev_b64 v[0:1], 3, v[6:7]
	v_add_co_u32_e32 v0, vcc, v10, v0
	v_addc_co_u32_e32 v1, vcc, v9, v1, vcc
	global_store_dwordx2 v[0:1], v[2:3], off
.LBB0_16:
	s_endpgm
	.section	.rodata,"a",@progbits
	.p2align	6, 0x0
	.amdhsa_kernel fft_rtc_back_len192_factors_6_4_4_2_wgs_256_tpt_32_sp_op_CI_CI_sbrc_z_xy_unaligned
		.amdhsa_group_segment_fixed_size 0
		.amdhsa_private_segment_fixed_size 0
		.amdhsa_kernarg_size 104
		.amdhsa_user_sgpr_count 6
		.amdhsa_user_sgpr_private_segment_buffer 1
		.amdhsa_user_sgpr_dispatch_ptr 0
		.amdhsa_user_sgpr_queue_ptr 0
		.amdhsa_user_sgpr_kernarg_segment_ptr 1
		.amdhsa_user_sgpr_dispatch_id 0
		.amdhsa_user_sgpr_flat_scratch_init 0
		.amdhsa_user_sgpr_private_segment_size 0
		.amdhsa_uses_dynamic_stack 0
		.amdhsa_system_sgpr_private_segment_wavefront_offset 0
		.amdhsa_system_sgpr_workgroup_id_x 1
		.amdhsa_system_sgpr_workgroup_id_y 0
		.amdhsa_system_sgpr_workgroup_id_z 0
		.amdhsa_system_sgpr_workgroup_info 0
		.amdhsa_system_vgpr_workitem_id 0
		.amdhsa_next_free_vgpr 40
		.amdhsa_next_free_sgpr 30
		.amdhsa_reserve_vcc 1
		.amdhsa_reserve_flat_scratch 0
		.amdhsa_float_round_mode_32 0
		.amdhsa_float_round_mode_16_64 0
		.amdhsa_float_denorm_mode_32 3
		.amdhsa_float_denorm_mode_16_64 3
		.amdhsa_dx10_clamp 1
		.amdhsa_ieee_mode 1
		.amdhsa_fp16_overflow 0
		.amdhsa_exception_fp_ieee_invalid_op 0
		.amdhsa_exception_fp_denorm_src 0
		.amdhsa_exception_fp_ieee_div_zero 0
		.amdhsa_exception_fp_ieee_overflow 0
		.amdhsa_exception_fp_ieee_underflow 0
		.amdhsa_exception_fp_ieee_inexact 0
		.amdhsa_exception_int_div_zero 0
	.end_amdhsa_kernel
	.text
.Lfunc_end0:
	.size	fft_rtc_back_len192_factors_6_4_4_2_wgs_256_tpt_32_sp_op_CI_CI_sbrc_z_xy_unaligned, .Lfunc_end0-fft_rtc_back_len192_factors_6_4_4_2_wgs_256_tpt_32_sp_op_CI_CI_sbrc_z_xy_unaligned
                                        ; -- End function
	.section	.AMDGPU.csdata,"",@progbits
; Kernel info:
; codeLenInByte = 3536
; NumSgprs: 34
; NumVgprs: 40
; ScratchSize: 0
; MemoryBound: 0
; FloatMode: 240
; IeeeMode: 1
; LDSByteSize: 0 bytes/workgroup (compile time only)
; SGPRBlocks: 4
; VGPRBlocks: 9
; NumSGPRsForWavesPerEU: 34
; NumVGPRsForWavesPerEU: 40
; Occupancy: 6
; WaveLimiterHint : 1
; COMPUTE_PGM_RSRC2:SCRATCH_EN: 0
; COMPUTE_PGM_RSRC2:USER_SGPR: 6
; COMPUTE_PGM_RSRC2:TRAP_HANDLER: 0
; COMPUTE_PGM_RSRC2:TGID_X_EN: 1
; COMPUTE_PGM_RSRC2:TGID_Y_EN: 0
; COMPUTE_PGM_RSRC2:TGID_Z_EN: 0
; COMPUTE_PGM_RSRC2:TIDIG_COMP_CNT: 0
	.type	__hip_cuid_7c89b00c364aec0,@object ; @__hip_cuid_7c89b00c364aec0
	.section	.bss,"aw",@nobits
	.globl	__hip_cuid_7c89b00c364aec0
__hip_cuid_7c89b00c364aec0:
	.byte	0                               ; 0x0
	.size	__hip_cuid_7c89b00c364aec0, 1

	.ident	"AMD clang version 19.0.0git (https://github.com/RadeonOpenCompute/llvm-project roc-6.4.0 25133 c7fe45cf4b819c5991fe208aaa96edf142730f1d)"
	.section	".note.GNU-stack","",@progbits
	.addrsig
	.addrsig_sym __hip_cuid_7c89b00c364aec0
	.amdgpu_metadata
---
amdhsa.kernels:
  - .args:
      - .actual_access:  read_only
        .address_space:  global
        .offset:         0
        .size:           8
        .value_kind:     global_buffer
      - .offset:         8
        .size:           8
        .value_kind:     by_value
      - .actual_access:  read_only
        .address_space:  global
        .offset:         16
        .size:           8
        .value_kind:     global_buffer
      - .actual_access:  read_only
        .address_space:  global
        .offset:         24
        .size:           8
        .value_kind:     global_buffer
      - .actual_access:  read_only
        .address_space:  global
        .offset:         32
        .size:           8
        .value_kind:     global_buffer
      - .offset:         40
        .size:           8
        .value_kind:     by_value
      - .actual_access:  read_only
        .address_space:  global
        .offset:         48
        .size:           8
        .value_kind:     global_buffer
      - .actual_access:  read_only
        .address_space:  global
        .offset:         56
        .size:           8
        .value_kind:     global_buffer
      - .offset:         64
        .size:           4
        .value_kind:     by_value
      - .actual_access:  read_only
        .address_space:  global
        .offset:         72
        .size:           8
        .value_kind:     global_buffer
      - .actual_access:  read_only
        .address_space:  global
        .offset:         80
        .size:           8
        .value_kind:     global_buffer
      - .actual_access:  read_only
        .address_space:  global
        .offset:         88
        .size:           8
        .value_kind:     global_buffer
      - .actual_access:  write_only
        .address_space:  global
        .offset:         96
        .size:           8
        .value_kind:     global_buffer
    .group_segment_fixed_size: 0
    .kernarg_segment_align: 8
    .kernarg_segment_size: 104
    .language:       OpenCL C
    .language_version:
      - 2
      - 0
    .max_flat_workgroup_size: 256
    .name:           fft_rtc_back_len192_factors_6_4_4_2_wgs_256_tpt_32_sp_op_CI_CI_sbrc_z_xy_unaligned
    .private_segment_fixed_size: 0
    .sgpr_count:     34
    .sgpr_spill_count: 0
    .symbol:         fft_rtc_back_len192_factors_6_4_4_2_wgs_256_tpt_32_sp_op_CI_CI_sbrc_z_xy_unaligned.kd
    .uniform_work_group_size: 1
    .uses_dynamic_stack: false
    .vgpr_count:     40
    .vgpr_spill_count: 0
    .wavefront_size: 64
amdhsa.target:   amdgcn-amd-amdhsa--gfx906
amdhsa.version:
  - 1
  - 2
...

	.end_amdgpu_metadata
